;; amdgpu-corpus repo=zjin-lcf/HeCBench kind=compiled arch=gfx906 opt=O3
	.amdgcn_target "amdgcn-amd-amdhsa--gfx906"
	.amdhsa_code_object_version 6
	.section	.text._Z10vhgw_horizIL11MorphOpType0EEvPhPKhiii,"axG",@progbits,_Z10vhgw_horizIL11MorphOpType0EEvPhPKhiii,comdat
	.protected	_Z10vhgw_horizIL11MorphOpType0EEvPhPKhiii ; -- Begin function _Z10vhgw_horizIL11MorphOpType0EEvPhPKhiii
	.globl	_Z10vhgw_horizIL11MorphOpType0EEvPhPKhiii
	.p2align	8
	.type	_Z10vhgw_horizIL11MorphOpType0EEvPhPKhiii,@function
_Z10vhgw_horizIL11MorphOpType0EEvPhPKhiii: ; @_Z10vhgw_horizIL11MorphOpType0EEvPhPKhiii
; %bb.0:
	s_load_dword s0, s[4:5], 0x2c
	s_load_dwordx4 s[8:11], s[4:5], 0x10
	s_waitcnt lgkmcnt(0)
	s_lshr_b32 s1, s0, 16
	s_and_b32 s0, s0, 0xffff
	s_mul_i32 s6, s6, s0
	s_mul_i32 s7, s7, s1
	v_add_u32_e32 v2, s6, v0
	v_add_u32_e32 v1, s7, v1
	v_cmp_gt_i32_e32 vcc, s8, v2
	v_cmp_gt_i32_e64 s[0:1], s9, v1
	s_and_b64 s[0:1], vcc, s[0:1]
	s_and_saveexec_b64 s[2:3], s[0:1]
	s_cbranch_execz .LBB0_12
; %bb.1:
	s_load_dwordx2 s[0:1], s[4:5], 0x8
	v_mad_u64_u32 v[3:4], s[2:3], v1, s8, v[2:3]
	v_add_u32_e32 v6, 0, v0
	v_add_u32_e32 v7, s10, v2
	v_ashrrev_i32_e32 v1, 31, v3
	s_waitcnt lgkmcnt(0)
	v_mov_b32_e32 v5, s1
	v_add_co_u32_e32 v4, vcc, s0, v3
	v_addc_co_u32_e32 v5, vcc, v5, v1, vcc
	global_load_ubyte v1, v[4:5], off
	v_cmp_gt_i32_e32 vcc, s8, v7
	s_waitcnt vmcnt(0)
	ds_write_b8 v6, v1
	v_add_u32_e32 v1, s10, v6
	s_and_saveexec_b64 s[0:1], vcc
	s_cbranch_execz .LBB0_3
; %bb.2:
	s_ashr_i32 s2, s10, 31
	v_mov_b32_e32 v7, s2
	v_add_co_u32_e32 v4, vcc, s10, v4
	v_addc_co_u32_e32 v5, vcc, v5, v7, vcc
	global_load_ubyte v4, v[4:5], off
	s_waitcnt vmcnt(0)
	ds_write_b8 v1, v4
.LBB0_3:
	s_or_b64 exec, exec, s[0:1]
	s_waitcnt lgkmcnt(0)
	s_barrier
	ds_read_u8 v4, v6
	ds_read_u8 v6, v1
	s_lshl_b32 s0, s10, 1
	s_add_i32 s3, s0, 0
	v_add_u32_e32 v1, s3, v0
	v_add_u32_e32 v5, s10, v0
	s_mov_b32 s2, 1
	s_waitcnt lgkmcnt(1)
	ds_write_b8 v1, v4
	v_add_u32_e32 v4, s3, v5
	s_cmp_lt_i32 s10, 2
	s_waitcnt lgkmcnt(1)
	ds_write_b8 v4, v6
	s_waitcnt lgkmcnt(0)
	s_barrier
	s_cbranch_scc1 .LBB0_10
; %bb.4:
	v_add_u32_e32 v5, -1, v5
	v_add_u32_e32 v6, s3, v5
	s_branch .LBB0_6
.LBB0_5:                                ;   in Loop: Header=BB0_6 Depth=1
	s_or_b64 exec, exec, s[0:1]
	s_lshl_b32 s2, s2, 1
	s_cmp_lt_i32 s2, s10
	s_waitcnt lgkmcnt(0)
	s_barrier
	s_cbranch_scc0 .LBB0_10
.LBB0_6:                                ; =>This Inner Loop Header: Depth=1
	v_cmp_le_u32_e32 vcc, s2, v0
	s_and_saveexec_b64 s[0:1], vcc
	s_cbranch_execz .LBB0_8
; %bb.7:                                ;   in Loop: Header=BB0_6 Depth=1
	v_subrev_u32_e32 v7, s2, v5
	v_add_u32_e32 v7, s3, v7
	ds_read_u8 v8, v6
	ds_read_u8 v7, v7
	s_waitcnt lgkmcnt(0)
	v_min_u16_e32 v7, v8, v7
	ds_write_b8 v6, v7
.LBB0_8:                                ;   in Loop: Header=BB0_6 Depth=1
	s_or_b64 exec, exec, s[0:1]
	s_not_b32 s0, s2
	s_add_i32 s0, s10, s0
	v_cmp_ge_i32_e32 vcc, s0, v0
	s_and_saveexec_b64 s[0:1], vcc
	s_cbranch_execz .LBB0_5
; %bb.9:                                ;   in Loop: Header=BB0_6 Depth=1
	v_add_u32_e32 v7, s2, v1
	ds_read_u8 v8, v1
	ds_read_u8 v7, v7
	s_waitcnt lgkmcnt(0)
	v_min_u16_e32 v7, v8, v7
	ds_write_b8 v1, v7
	s_branch .LBB0_5
.LBB0_10:
	s_lshr_b32 s0, s10, 31
	s_add_i32 s0, s10, s0
	s_ashr_i32 s0, s0, 1
	v_add_u32_e32 v0, s0, v2
	s_sub_i32 s1, s8, s0
	v_cmp_gt_i32_e32 vcc, s1, v0
	s_and_b64 exec, exec, vcc
	s_cbranch_execz .LBB0_12
; %bb.11:
	s_load_dwordx2 s[2:3], s[4:5], 0x0
	v_add_u32_e32 v2, -1, v4
	v_add_u32_e32 v0, s0, v3
	ds_read_u8 v3, v1
	ds_read_u8 v2, v2
	v_ashrrev_i32_e32 v1, 31, v0
	s_waitcnt lgkmcnt(0)
	v_mov_b32_e32 v4, s3
	v_add_co_u32_e32 v0, vcc, s2, v0
	v_addc_co_u32_e32 v1, vcc, v4, v1, vcc
	v_min_u16_e32 v2, v3, v2
	global_store_byte v[0:1], v2, off
.LBB0_12:
	s_endpgm
	.section	.rodata,"a",@progbits
	.p2align	6, 0x0
	.amdhsa_kernel _Z10vhgw_horizIL11MorphOpType0EEvPhPKhiii
		.amdhsa_group_segment_fixed_size 0
		.amdhsa_private_segment_fixed_size 0
		.amdhsa_kernarg_size 288
		.amdhsa_user_sgpr_count 6
		.amdhsa_user_sgpr_private_segment_buffer 1
		.amdhsa_user_sgpr_dispatch_ptr 0
		.amdhsa_user_sgpr_queue_ptr 0
		.amdhsa_user_sgpr_kernarg_segment_ptr 1
		.amdhsa_user_sgpr_dispatch_id 0
		.amdhsa_user_sgpr_flat_scratch_init 0
		.amdhsa_user_sgpr_private_segment_size 0
		.amdhsa_uses_dynamic_stack 0
		.amdhsa_system_sgpr_private_segment_wavefront_offset 0
		.amdhsa_system_sgpr_workgroup_id_x 1
		.amdhsa_system_sgpr_workgroup_id_y 1
		.amdhsa_system_sgpr_workgroup_id_z 0
		.amdhsa_system_sgpr_workgroup_info 0
		.amdhsa_system_vgpr_workitem_id 1
		.amdhsa_next_free_vgpr 9
		.amdhsa_next_free_sgpr 12
		.amdhsa_reserve_vcc 1
		.amdhsa_reserve_flat_scratch 0
		.amdhsa_float_round_mode_32 0
		.amdhsa_float_round_mode_16_64 0
		.amdhsa_float_denorm_mode_32 3
		.amdhsa_float_denorm_mode_16_64 3
		.amdhsa_dx10_clamp 1
		.amdhsa_ieee_mode 1
		.amdhsa_fp16_overflow 0
		.amdhsa_exception_fp_ieee_invalid_op 0
		.amdhsa_exception_fp_denorm_src 0
		.amdhsa_exception_fp_ieee_div_zero 0
		.amdhsa_exception_fp_ieee_overflow 0
		.amdhsa_exception_fp_ieee_underflow 0
		.amdhsa_exception_fp_ieee_inexact 0
		.amdhsa_exception_int_div_zero 0
	.end_amdhsa_kernel
	.section	.text._Z10vhgw_horizIL11MorphOpType0EEvPhPKhiii,"axG",@progbits,_Z10vhgw_horizIL11MorphOpType0EEvPhPKhiii,comdat
.Lfunc_end0:
	.size	_Z10vhgw_horizIL11MorphOpType0EEvPhPKhiii, .Lfunc_end0-_Z10vhgw_horizIL11MorphOpType0EEvPhPKhiii
                                        ; -- End function
	.set _Z10vhgw_horizIL11MorphOpType0EEvPhPKhiii.num_vgpr, 9
	.set _Z10vhgw_horizIL11MorphOpType0EEvPhPKhiii.num_agpr, 0
	.set _Z10vhgw_horizIL11MorphOpType0EEvPhPKhiii.numbered_sgpr, 12
	.set _Z10vhgw_horizIL11MorphOpType0EEvPhPKhiii.num_named_barrier, 0
	.set _Z10vhgw_horizIL11MorphOpType0EEvPhPKhiii.private_seg_size, 0
	.set _Z10vhgw_horizIL11MorphOpType0EEvPhPKhiii.uses_vcc, 1
	.set _Z10vhgw_horizIL11MorphOpType0EEvPhPKhiii.uses_flat_scratch, 0
	.set _Z10vhgw_horizIL11MorphOpType0EEvPhPKhiii.has_dyn_sized_stack, 0
	.set _Z10vhgw_horizIL11MorphOpType0EEvPhPKhiii.has_recursion, 0
	.set _Z10vhgw_horizIL11MorphOpType0EEvPhPKhiii.has_indirect_call, 0
	.section	.AMDGPU.csdata,"",@progbits
; Kernel info:
; codeLenInByte = 532
; TotalNumSgprs: 16
; NumVgprs: 9
; ScratchSize: 0
; MemoryBound: 0
; FloatMode: 240
; IeeeMode: 1
; LDSByteSize: 0 bytes/workgroup (compile time only)
; SGPRBlocks: 1
; VGPRBlocks: 2
; NumSGPRsForWavesPerEU: 16
; NumVGPRsForWavesPerEU: 9
; Occupancy: 10
; WaveLimiterHint : 0
; COMPUTE_PGM_RSRC2:SCRATCH_EN: 0
; COMPUTE_PGM_RSRC2:USER_SGPR: 6
; COMPUTE_PGM_RSRC2:TRAP_HANDLER: 0
; COMPUTE_PGM_RSRC2:TGID_X_EN: 1
; COMPUTE_PGM_RSRC2:TGID_Y_EN: 1
; COMPUTE_PGM_RSRC2:TGID_Z_EN: 0
; COMPUTE_PGM_RSRC2:TIDIG_COMP_CNT: 1
	.section	.text._Z9vhgw_vertIL11MorphOpType0EEvPhPKhiii,"axG",@progbits,_Z9vhgw_vertIL11MorphOpType0EEvPhPKhiii,comdat
	.protected	_Z9vhgw_vertIL11MorphOpType0EEvPhPKhiii ; -- Begin function _Z9vhgw_vertIL11MorphOpType0EEvPhPKhiii
	.globl	_Z9vhgw_vertIL11MorphOpType0EEvPhPKhiii
	.p2align	8
	.type	_Z9vhgw_vertIL11MorphOpType0EEvPhPKhiii,@function
_Z9vhgw_vertIL11MorphOpType0EEvPhPKhiii: ; @_Z9vhgw_vertIL11MorphOpType0EEvPhPKhiii
; %bb.0:
	s_load_dword s0, s[4:5], 0x2c
	s_load_dwordx4 s[8:11], s[4:5], 0x10
	s_waitcnt lgkmcnt(0)
	s_lshr_b32 s1, s0, 16
	s_and_b32 s0, s0, 0xffff
	s_mul_i32 s6, s6, s0
	s_mul_i32 s7, s7, s1
	v_add_u32_e32 v0, s6, v0
	v_add_u32_e32 v4, s7, v1
	v_cmp_gt_i32_e32 vcc, s9, v4
	v_cmp_gt_i32_e64 s[0:1], s8, v0
	s_and_b64 s[0:1], s[0:1], vcc
	s_and_saveexec_b64 s[2:3], s[0:1]
	s_cbranch_execz .LBB1_14
; %bb.1:
	s_load_dwordx2 s[0:1], s[4:5], 0x8
	v_mad_u64_u32 v[2:3], s[2:3], v4, s8, v[0:1]
	v_add_u32_e32 v7, s10, v4
	v_ashrrev_i32_e32 v3, 31, v2
	s_waitcnt lgkmcnt(0)
	v_mov_b32_e32 v6, s1
	v_add_co_u32_e32 v5, vcc, s0, v2
	v_addc_co_u32_e32 v6, vcc, v6, v3, vcc
	global_load_ubyte v5, v[5:6], off
	v_add_u32_e32 v6, 0, v1
	v_cmp_gt_i32_e32 vcc, s9, v7
	s_waitcnt vmcnt(0)
	ds_write_b8 v6, v5
	v_add_u32_e32 v5, s10, v6
	s_and_saveexec_b64 s[2:3], vcc
	s_cbranch_execz .LBB1_3
; %bb.2:
	v_mad_u64_u32 v[7:8], s[6:7], v7, s8, v[0:1]
	v_mov_b32_e32 v8, s1
	v_ashrrev_i32_e32 v9, 31, v7
	v_add_co_u32_e32 v7, vcc, s0, v7
	v_addc_co_u32_e32 v8, vcc, v8, v9, vcc
	global_load_ubyte v7, v[7:8], off
	s_waitcnt vmcnt(0)
	ds_write_b8 v5, v7
.LBB1_3:
	s_or_b64 exec, exec, s[2:3]
	s_waitcnt lgkmcnt(0)
	s_barrier
	ds_read_u8 v6, v6
	ds_read_u8 v8, v5
	s_load_dwordx2 s[2:3], s[4:5], 0x0
	s_lshl_b32 s0, s10, 1
	s_add_i32 s5, s0, 0
	v_add_u32_e32 v5, s5, v1
	v_add_u32_e32 v7, s10, v1
	s_mov_b32 s4, 1
	s_waitcnt lgkmcnt(0)
	ds_write_b8 v5, v6
	v_add_u32_e32 v6, s5, v7
	s_cmp_lt_i32 s10, 2
	ds_write_b8 v6, v8
	s_waitcnt lgkmcnt(0)
	s_barrier
	s_cbranch_scc1 .LBB1_10
; %bb.4:
	v_add_u32_e32 v7, -1, v7
	v_add_u32_e32 v8, s5, v7
	s_branch .LBB1_6
.LBB1_5:                                ;   in Loop: Header=BB1_6 Depth=1
	s_or_b64 exec, exec, s[0:1]
	s_lshl_b32 s4, s4, 1
	s_cmp_lt_i32 s4, s10
	s_waitcnt lgkmcnt(0)
	s_barrier
	s_cbranch_scc0 .LBB1_10
.LBB1_6:                                ; =>This Inner Loop Header: Depth=1
	v_cmp_le_u32_e32 vcc, s4, v1
	s_and_saveexec_b64 s[0:1], vcc
	s_cbranch_execz .LBB1_8
; %bb.7:                                ;   in Loop: Header=BB1_6 Depth=1
	v_subrev_u32_e32 v9, s4, v7
	v_add_u32_e32 v9, s5, v9
	ds_read_u8 v10, v8
	ds_read_u8 v9, v9
	s_waitcnt lgkmcnt(0)
	v_min_u16_e32 v9, v10, v9
	ds_write_b8 v8, v9
.LBB1_8:                                ;   in Loop: Header=BB1_6 Depth=1
	s_or_b64 exec, exec, s[0:1]
	s_not_b32 s0, s4
	s_add_i32 s0, s10, s0
	v_cmp_ge_i32_e32 vcc, s0, v1
	s_and_saveexec_b64 s[0:1], vcc
	s_cbranch_execz .LBB1_5
; %bb.9:                                ;   in Loop: Header=BB1_6 Depth=1
	v_add_u32_e32 v9, s4, v5
	ds_read_u8 v10, v5
	ds_read_u8 v9, v9
	s_waitcnt lgkmcnt(0)
	v_min_u16_e32 v9, v10, v9
	ds_write_b8 v5, v9
	s_branch .LBB1_5
.LBB1_10:
	s_lshr_b32 s0, s10, 31
	s_add_i32 s0, s10, s0
	s_ashr_i32 s4, s0, 1
	v_add_u32_e32 v1, s4, v4
	s_sub_i32 s5, s9, s4
	v_cmp_gt_i32_e32 vcc, s5, v1
	s_and_saveexec_b64 s[0:1], vcc
	s_cbranch_execz .LBB1_12
; %bb.11:
	v_mad_u64_u32 v[0:1], s[6:7], v1, s8, v[0:1]
	v_add_u32_e32 v6, -1, v6
	ds_read_u8 v1, v5
	ds_read_u8 v5, v6
	v_ashrrev_i32_e32 v6, 31, v0
	v_add_co_u32_e32 v0, vcc, s2, v0
	s_waitcnt lgkmcnt(0)
	v_min_u16_e32 v5, v1, v5
	v_mov_b32_e32 v1, s3
	v_addc_co_u32_e32 v1, vcc, v1, v6, vcc
	global_store_byte v[0:1], v5, off
.LBB1_12:
	s_or_b64 exec, exec, s[0:1]
	v_cmp_gt_i32_e32 vcc, s4, v4
	v_cmp_le_i32_e64 s[0:1], s5, v4
	s_or_b64 s[0:1], vcc, s[0:1]
	s_and_b64 exec, exec, s[0:1]
	s_cbranch_execz .LBB1_14
; %bb.13:
	v_mov_b32_e32 v1, s3
	v_add_co_u32_e32 v0, vcc, s2, v2
	v_addc_co_u32_e32 v1, vcc, v1, v3, vcc
	v_mov_b32_e32 v2, 0
	global_store_byte v[0:1], v2, off
.LBB1_14:
	s_endpgm
	.section	.rodata,"a",@progbits
	.p2align	6, 0x0
	.amdhsa_kernel _Z9vhgw_vertIL11MorphOpType0EEvPhPKhiii
		.amdhsa_group_segment_fixed_size 0
		.amdhsa_private_segment_fixed_size 0
		.amdhsa_kernarg_size 288
		.amdhsa_user_sgpr_count 6
		.amdhsa_user_sgpr_private_segment_buffer 1
		.amdhsa_user_sgpr_dispatch_ptr 0
		.amdhsa_user_sgpr_queue_ptr 0
		.amdhsa_user_sgpr_kernarg_segment_ptr 1
		.amdhsa_user_sgpr_dispatch_id 0
		.amdhsa_user_sgpr_flat_scratch_init 0
		.amdhsa_user_sgpr_private_segment_size 0
		.amdhsa_uses_dynamic_stack 0
		.amdhsa_system_sgpr_private_segment_wavefront_offset 0
		.amdhsa_system_sgpr_workgroup_id_x 1
		.amdhsa_system_sgpr_workgroup_id_y 1
		.amdhsa_system_sgpr_workgroup_id_z 0
		.amdhsa_system_sgpr_workgroup_info 0
		.amdhsa_system_vgpr_workitem_id 1
		.amdhsa_next_free_vgpr 11
		.amdhsa_next_free_sgpr 12
		.amdhsa_reserve_vcc 1
		.amdhsa_reserve_flat_scratch 0
		.amdhsa_float_round_mode_32 0
		.amdhsa_float_round_mode_16_64 0
		.amdhsa_float_denorm_mode_32 3
		.amdhsa_float_denorm_mode_16_64 3
		.amdhsa_dx10_clamp 1
		.amdhsa_ieee_mode 1
		.amdhsa_fp16_overflow 0
		.amdhsa_exception_fp_ieee_invalid_op 0
		.amdhsa_exception_fp_denorm_src 0
		.amdhsa_exception_fp_ieee_div_zero 0
		.amdhsa_exception_fp_ieee_overflow 0
		.amdhsa_exception_fp_ieee_underflow 0
		.amdhsa_exception_fp_ieee_inexact 0
		.amdhsa_exception_int_div_zero 0
	.end_amdhsa_kernel
	.section	.text._Z9vhgw_vertIL11MorphOpType0EEvPhPKhiii,"axG",@progbits,_Z9vhgw_vertIL11MorphOpType0EEvPhPKhiii,comdat
.Lfunc_end1:
	.size	_Z9vhgw_vertIL11MorphOpType0EEvPhPKhiii, .Lfunc_end1-_Z9vhgw_vertIL11MorphOpType0EEvPhPKhiii
                                        ; -- End function
	.set _Z9vhgw_vertIL11MorphOpType0EEvPhPKhiii.num_vgpr, 11
	.set _Z9vhgw_vertIL11MorphOpType0EEvPhPKhiii.num_agpr, 0
	.set _Z9vhgw_vertIL11MorphOpType0EEvPhPKhiii.numbered_sgpr, 12
	.set _Z9vhgw_vertIL11MorphOpType0EEvPhPKhiii.num_named_barrier, 0
	.set _Z9vhgw_vertIL11MorphOpType0EEvPhPKhiii.private_seg_size, 0
	.set _Z9vhgw_vertIL11MorphOpType0EEvPhPKhiii.uses_vcc, 1
	.set _Z9vhgw_vertIL11MorphOpType0EEvPhPKhiii.uses_flat_scratch, 0
	.set _Z9vhgw_vertIL11MorphOpType0EEvPhPKhiii.has_dyn_sized_stack, 0
	.set _Z9vhgw_vertIL11MorphOpType0EEvPhPKhiii.has_recursion, 0
	.set _Z9vhgw_vertIL11MorphOpType0EEvPhPKhiii.has_indirect_call, 0
	.section	.AMDGPU.csdata,"",@progbits
; Kernel info:
; codeLenInByte = 592
; TotalNumSgprs: 16
; NumVgprs: 11
; ScratchSize: 0
; MemoryBound: 0
; FloatMode: 240
; IeeeMode: 1
; LDSByteSize: 0 bytes/workgroup (compile time only)
; SGPRBlocks: 1
; VGPRBlocks: 2
; NumSGPRsForWavesPerEU: 16
; NumVGPRsForWavesPerEU: 11
; Occupancy: 10
; WaveLimiterHint : 0
; COMPUTE_PGM_RSRC2:SCRATCH_EN: 0
; COMPUTE_PGM_RSRC2:USER_SGPR: 6
; COMPUTE_PGM_RSRC2:TRAP_HANDLER: 0
; COMPUTE_PGM_RSRC2:TGID_X_EN: 1
; COMPUTE_PGM_RSRC2:TGID_Y_EN: 1
; COMPUTE_PGM_RSRC2:TGID_Z_EN: 0
; COMPUTE_PGM_RSRC2:TIDIG_COMP_CNT: 1
	.section	.text._Z10vhgw_horizIL11MorphOpType1EEvPhPKhiii,"axG",@progbits,_Z10vhgw_horizIL11MorphOpType1EEvPhPKhiii,comdat
	.protected	_Z10vhgw_horizIL11MorphOpType1EEvPhPKhiii ; -- Begin function _Z10vhgw_horizIL11MorphOpType1EEvPhPKhiii
	.globl	_Z10vhgw_horizIL11MorphOpType1EEvPhPKhiii
	.p2align	8
	.type	_Z10vhgw_horizIL11MorphOpType1EEvPhPKhiii,@function
_Z10vhgw_horizIL11MorphOpType1EEvPhPKhiii: ; @_Z10vhgw_horizIL11MorphOpType1EEvPhPKhiii
; %bb.0:
	s_load_dword s0, s[4:5], 0x2c
	s_load_dwordx4 s[8:11], s[4:5], 0x10
	s_waitcnt lgkmcnt(0)
	s_lshr_b32 s1, s0, 16
	s_and_b32 s0, s0, 0xffff
	s_mul_i32 s6, s6, s0
	s_mul_i32 s7, s7, s1
	v_add_u32_e32 v2, s6, v0
	v_add_u32_e32 v1, s7, v1
	v_cmp_gt_i32_e32 vcc, s8, v2
	v_cmp_gt_i32_e64 s[0:1], s9, v1
	s_and_b64 s[0:1], vcc, s[0:1]
	s_and_saveexec_b64 s[2:3], s[0:1]
	s_cbranch_execz .LBB2_12
; %bb.1:
	s_load_dwordx2 s[0:1], s[4:5], 0x8
	v_mad_u64_u32 v[3:4], s[2:3], v1, s8, v[2:3]
	v_add_u32_e32 v6, 0, v0
	v_add_u32_e32 v7, s10, v2
	v_ashrrev_i32_e32 v1, 31, v3
	s_waitcnt lgkmcnt(0)
	v_mov_b32_e32 v5, s1
	v_add_co_u32_e32 v4, vcc, s0, v3
	v_addc_co_u32_e32 v5, vcc, v5, v1, vcc
	global_load_ubyte v1, v[4:5], off
	v_cmp_gt_i32_e32 vcc, s8, v7
	s_waitcnt vmcnt(0)
	ds_write_b8 v6, v1
	v_add_u32_e32 v1, s10, v6
	s_and_saveexec_b64 s[0:1], vcc
	s_cbranch_execz .LBB2_3
; %bb.2:
	s_ashr_i32 s2, s10, 31
	v_mov_b32_e32 v7, s2
	v_add_co_u32_e32 v4, vcc, s10, v4
	v_addc_co_u32_e32 v5, vcc, v5, v7, vcc
	global_load_ubyte v4, v[4:5], off
	s_waitcnt vmcnt(0)
	ds_write_b8 v1, v4
.LBB2_3:
	s_or_b64 exec, exec, s[0:1]
	s_waitcnt lgkmcnt(0)
	s_barrier
	ds_read_u8 v4, v6
	ds_read_u8 v6, v1
	s_lshl_b32 s0, s10, 1
	s_add_i32 s3, s0, 0
	v_add_u32_e32 v1, s3, v0
	v_add_u32_e32 v5, s10, v0
	s_mov_b32 s2, 1
	s_waitcnt lgkmcnt(1)
	ds_write_b8 v1, v4
	v_add_u32_e32 v4, s3, v5
	s_cmp_lt_i32 s10, 2
	s_waitcnt lgkmcnt(1)
	ds_write_b8 v4, v6
	s_waitcnt lgkmcnt(0)
	s_barrier
	s_cbranch_scc1 .LBB2_10
; %bb.4:
	v_add_u32_e32 v5, -1, v5
	v_add_u32_e32 v6, s3, v5
	s_branch .LBB2_6
.LBB2_5:                                ;   in Loop: Header=BB2_6 Depth=1
	s_or_b64 exec, exec, s[0:1]
	s_lshl_b32 s2, s2, 1
	s_cmp_lt_i32 s2, s10
	s_waitcnt lgkmcnt(0)
	s_barrier
	s_cbranch_scc0 .LBB2_10
.LBB2_6:                                ; =>This Inner Loop Header: Depth=1
	v_cmp_le_u32_e32 vcc, s2, v0
	s_and_saveexec_b64 s[0:1], vcc
	s_cbranch_execz .LBB2_8
; %bb.7:                                ;   in Loop: Header=BB2_6 Depth=1
	v_subrev_u32_e32 v7, s2, v5
	v_add_u32_e32 v7, s3, v7
	ds_read_u8 v8, v6
	ds_read_u8 v7, v7
	s_waitcnt lgkmcnt(0)
	v_max_u16_e32 v7, v8, v7
	ds_write_b8 v6, v7
.LBB2_8:                                ;   in Loop: Header=BB2_6 Depth=1
	s_or_b64 exec, exec, s[0:1]
	s_not_b32 s0, s2
	s_add_i32 s0, s10, s0
	v_cmp_ge_i32_e32 vcc, s0, v0
	s_and_saveexec_b64 s[0:1], vcc
	s_cbranch_execz .LBB2_5
; %bb.9:                                ;   in Loop: Header=BB2_6 Depth=1
	v_add_u32_e32 v7, s2, v1
	ds_read_u8 v8, v1
	ds_read_u8 v7, v7
	s_waitcnt lgkmcnt(0)
	v_max_u16_e32 v7, v8, v7
	ds_write_b8 v1, v7
	s_branch .LBB2_5
.LBB2_10:
	s_lshr_b32 s0, s10, 31
	s_add_i32 s0, s10, s0
	s_ashr_i32 s0, s0, 1
	v_add_u32_e32 v0, s0, v2
	s_sub_i32 s1, s8, s0
	v_cmp_gt_i32_e32 vcc, s1, v0
	s_and_b64 exec, exec, vcc
	s_cbranch_execz .LBB2_12
; %bb.11:
	s_load_dwordx2 s[2:3], s[4:5], 0x0
	v_add_u32_e32 v2, -1, v4
	v_add_u32_e32 v0, s0, v3
	ds_read_u8 v3, v1
	ds_read_u8 v2, v2
	v_ashrrev_i32_e32 v1, 31, v0
	s_waitcnt lgkmcnt(0)
	v_mov_b32_e32 v4, s3
	v_add_co_u32_e32 v0, vcc, s2, v0
	v_addc_co_u32_e32 v1, vcc, v4, v1, vcc
	v_max_u16_e32 v2, v3, v2
	global_store_byte v[0:1], v2, off
.LBB2_12:
	s_endpgm
	.section	.rodata,"a",@progbits
	.p2align	6, 0x0
	.amdhsa_kernel _Z10vhgw_horizIL11MorphOpType1EEvPhPKhiii
		.amdhsa_group_segment_fixed_size 0
		.amdhsa_private_segment_fixed_size 0
		.amdhsa_kernarg_size 288
		.amdhsa_user_sgpr_count 6
		.amdhsa_user_sgpr_private_segment_buffer 1
		.amdhsa_user_sgpr_dispatch_ptr 0
		.amdhsa_user_sgpr_queue_ptr 0
		.amdhsa_user_sgpr_kernarg_segment_ptr 1
		.amdhsa_user_sgpr_dispatch_id 0
		.amdhsa_user_sgpr_flat_scratch_init 0
		.amdhsa_user_sgpr_private_segment_size 0
		.amdhsa_uses_dynamic_stack 0
		.amdhsa_system_sgpr_private_segment_wavefront_offset 0
		.amdhsa_system_sgpr_workgroup_id_x 1
		.amdhsa_system_sgpr_workgroup_id_y 1
		.amdhsa_system_sgpr_workgroup_id_z 0
		.amdhsa_system_sgpr_workgroup_info 0
		.amdhsa_system_vgpr_workitem_id 1
		.amdhsa_next_free_vgpr 9
		.amdhsa_next_free_sgpr 12
		.amdhsa_reserve_vcc 1
		.amdhsa_reserve_flat_scratch 0
		.amdhsa_float_round_mode_32 0
		.amdhsa_float_round_mode_16_64 0
		.amdhsa_float_denorm_mode_32 3
		.amdhsa_float_denorm_mode_16_64 3
		.amdhsa_dx10_clamp 1
		.amdhsa_ieee_mode 1
		.amdhsa_fp16_overflow 0
		.amdhsa_exception_fp_ieee_invalid_op 0
		.amdhsa_exception_fp_denorm_src 0
		.amdhsa_exception_fp_ieee_div_zero 0
		.amdhsa_exception_fp_ieee_overflow 0
		.amdhsa_exception_fp_ieee_underflow 0
		.amdhsa_exception_fp_ieee_inexact 0
		.amdhsa_exception_int_div_zero 0
	.end_amdhsa_kernel
	.section	.text._Z10vhgw_horizIL11MorphOpType1EEvPhPKhiii,"axG",@progbits,_Z10vhgw_horizIL11MorphOpType1EEvPhPKhiii,comdat
.Lfunc_end2:
	.size	_Z10vhgw_horizIL11MorphOpType1EEvPhPKhiii, .Lfunc_end2-_Z10vhgw_horizIL11MorphOpType1EEvPhPKhiii
                                        ; -- End function
	.set _Z10vhgw_horizIL11MorphOpType1EEvPhPKhiii.num_vgpr, 9
	.set _Z10vhgw_horizIL11MorphOpType1EEvPhPKhiii.num_agpr, 0
	.set _Z10vhgw_horizIL11MorphOpType1EEvPhPKhiii.numbered_sgpr, 12
	.set _Z10vhgw_horizIL11MorphOpType1EEvPhPKhiii.num_named_barrier, 0
	.set _Z10vhgw_horizIL11MorphOpType1EEvPhPKhiii.private_seg_size, 0
	.set _Z10vhgw_horizIL11MorphOpType1EEvPhPKhiii.uses_vcc, 1
	.set _Z10vhgw_horizIL11MorphOpType1EEvPhPKhiii.uses_flat_scratch, 0
	.set _Z10vhgw_horizIL11MorphOpType1EEvPhPKhiii.has_dyn_sized_stack, 0
	.set _Z10vhgw_horizIL11MorphOpType1EEvPhPKhiii.has_recursion, 0
	.set _Z10vhgw_horizIL11MorphOpType1EEvPhPKhiii.has_indirect_call, 0
	.section	.AMDGPU.csdata,"",@progbits
; Kernel info:
; codeLenInByte = 532
; TotalNumSgprs: 16
; NumVgprs: 9
; ScratchSize: 0
; MemoryBound: 0
; FloatMode: 240
; IeeeMode: 1
; LDSByteSize: 0 bytes/workgroup (compile time only)
; SGPRBlocks: 1
; VGPRBlocks: 2
; NumSGPRsForWavesPerEU: 16
; NumVGPRsForWavesPerEU: 9
; Occupancy: 10
; WaveLimiterHint : 0
; COMPUTE_PGM_RSRC2:SCRATCH_EN: 0
; COMPUTE_PGM_RSRC2:USER_SGPR: 6
; COMPUTE_PGM_RSRC2:TRAP_HANDLER: 0
; COMPUTE_PGM_RSRC2:TGID_X_EN: 1
; COMPUTE_PGM_RSRC2:TGID_Y_EN: 1
; COMPUTE_PGM_RSRC2:TGID_Z_EN: 0
; COMPUTE_PGM_RSRC2:TIDIG_COMP_CNT: 1
	.section	.text._Z9vhgw_vertIL11MorphOpType1EEvPhPKhiii,"axG",@progbits,_Z9vhgw_vertIL11MorphOpType1EEvPhPKhiii,comdat
	.protected	_Z9vhgw_vertIL11MorphOpType1EEvPhPKhiii ; -- Begin function _Z9vhgw_vertIL11MorphOpType1EEvPhPKhiii
	.globl	_Z9vhgw_vertIL11MorphOpType1EEvPhPKhiii
	.p2align	8
	.type	_Z9vhgw_vertIL11MorphOpType1EEvPhPKhiii,@function
_Z9vhgw_vertIL11MorphOpType1EEvPhPKhiii: ; @_Z9vhgw_vertIL11MorphOpType1EEvPhPKhiii
; %bb.0:
	s_load_dword s0, s[4:5], 0x2c
	s_load_dwordx4 s[8:11], s[4:5], 0x10
	s_waitcnt lgkmcnt(0)
	s_lshr_b32 s1, s0, 16
	s_and_b32 s0, s0, 0xffff
	s_mul_i32 s6, s6, s0
	s_mul_i32 s7, s7, s1
	v_add_u32_e32 v0, s6, v0
	v_add_u32_e32 v4, s7, v1
	v_cmp_gt_i32_e32 vcc, s9, v4
	v_cmp_gt_i32_e64 s[0:1], s8, v0
	s_and_b64 s[0:1], s[0:1], vcc
	s_and_saveexec_b64 s[2:3], s[0:1]
	s_cbranch_execz .LBB3_14
; %bb.1:
	s_load_dwordx2 s[0:1], s[4:5], 0x8
	v_mad_u64_u32 v[2:3], s[2:3], v4, s8, v[0:1]
	v_add_u32_e32 v7, s10, v4
	v_ashrrev_i32_e32 v3, 31, v2
	s_waitcnt lgkmcnt(0)
	v_mov_b32_e32 v6, s1
	v_add_co_u32_e32 v5, vcc, s0, v2
	v_addc_co_u32_e32 v6, vcc, v6, v3, vcc
	global_load_ubyte v5, v[5:6], off
	v_add_u32_e32 v6, 0, v1
	v_cmp_gt_i32_e32 vcc, s9, v7
	s_waitcnt vmcnt(0)
	ds_write_b8 v6, v5
	v_add_u32_e32 v5, s10, v6
	s_and_saveexec_b64 s[2:3], vcc
	s_cbranch_execz .LBB3_3
; %bb.2:
	v_mad_u64_u32 v[7:8], s[6:7], v7, s8, v[0:1]
	v_mov_b32_e32 v8, s1
	v_ashrrev_i32_e32 v9, 31, v7
	v_add_co_u32_e32 v7, vcc, s0, v7
	v_addc_co_u32_e32 v8, vcc, v8, v9, vcc
	global_load_ubyte v7, v[7:8], off
	s_waitcnt vmcnt(0)
	ds_write_b8 v5, v7
.LBB3_3:
	s_or_b64 exec, exec, s[2:3]
	s_waitcnt lgkmcnt(0)
	s_barrier
	ds_read_u8 v6, v6
	ds_read_u8 v8, v5
	s_load_dwordx2 s[2:3], s[4:5], 0x0
	s_lshl_b32 s0, s10, 1
	s_add_i32 s5, s0, 0
	v_add_u32_e32 v5, s5, v1
	v_add_u32_e32 v7, s10, v1
	s_mov_b32 s4, 1
	s_waitcnt lgkmcnt(0)
	ds_write_b8 v5, v6
	v_add_u32_e32 v6, s5, v7
	s_cmp_lt_i32 s10, 2
	ds_write_b8 v6, v8
	s_waitcnt lgkmcnt(0)
	s_barrier
	s_cbranch_scc1 .LBB3_10
; %bb.4:
	v_add_u32_e32 v7, -1, v7
	v_add_u32_e32 v8, s5, v7
	s_branch .LBB3_6
.LBB3_5:                                ;   in Loop: Header=BB3_6 Depth=1
	s_or_b64 exec, exec, s[0:1]
	s_lshl_b32 s4, s4, 1
	s_cmp_lt_i32 s4, s10
	s_waitcnt lgkmcnt(0)
	s_barrier
	s_cbranch_scc0 .LBB3_10
.LBB3_6:                                ; =>This Inner Loop Header: Depth=1
	v_cmp_le_u32_e32 vcc, s4, v1
	s_and_saveexec_b64 s[0:1], vcc
	s_cbranch_execz .LBB3_8
; %bb.7:                                ;   in Loop: Header=BB3_6 Depth=1
	v_subrev_u32_e32 v9, s4, v7
	v_add_u32_e32 v9, s5, v9
	ds_read_u8 v10, v8
	ds_read_u8 v9, v9
	s_waitcnt lgkmcnt(0)
	v_max_u16_e32 v9, v10, v9
	ds_write_b8 v8, v9
.LBB3_8:                                ;   in Loop: Header=BB3_6 Depth=1
	s_or_b64 exec, exec, s[0:1]
	s_not_b32 s0, s4
	s_add_i32 s0, s10, s0
	v_cmp_ge_i32_e32 vcc, s0, v1
	s_and_saveexec_b64 s[0:1], vcc
	s_cbranch_execz .LBB3_5
; %bb.9:                                ;   in Loop: Header=BB3_6 Depth=1
	v_add_u32_e32 v9, s4, v5
	ds_read_u8 v10, v5
	ds_read_u8 v9, v9
	s_waitcnt lgkmcnt(0)
	v_max_u16_e32 v9, v10, v9
	ds_write_b8 v5, v9
	s_branch .LBB3_5
.LBB3_10:
	s_lshr_b32 s0, s10, 31
	s_add_i32 s0, s10, s0
	s_ashr_i32 s4, s0, 1
	v_add_u32_e32 v1, s4, v4
	s_sub_i32 s5, s9, s4
	v_cmp_gt_i32_e32 vcc, s5, v1
	s_and_saveexec_b64 s[0:1], vcc
	s_cbranch_execz .LBB3_12
; %bb.11:
	v_mad_u64_u32 v[0:1], s[6:7], v1, s8, v[0:1]
	v_add_u32_e32 v6, -1, v6
	ds_read_u8 v1, v5
	ds_read_u8 v5, v6
	v_ashrrev_i32_e32 v6, 31, v0
	v_add_co_u32_e32 v0, vcc, s2, v0
	s_waitcnt lgkmcnt(0)
	v_max_u16_e32 v5, v1, v5
	v_mov_b32_e32 v1, s3
	v_addc_co_u32_e32 v1, vcc, v1, v6, vcc
	global_store_byte v[0:1], v5, off
.LBB3_12:
	s_or_b64 exec, exec, s[0:1]
	v_cmp_gt_i32_e32 vcc, s4, v4
	v_cmp_le_i32_e64 s[0:1], s5, v4
	s_or_b64 s[0:1], vcc, s[0:1]
	s_and_b64 exec, exec, s[0:1]
	s_cbranch_execz .LBB3_14
; %bb.13:
	v_mov_b32_e32 v1, s3
	v_add_co_u32_e32 v0, vcc, s2, v2
	v_addc_co_u32_e32 v1, vcc, v1, v3, vcc
	v_mov_b32_e32 v2, 0xff
	global_store_byte v[0:1], v2, off
.LBB3_14:
	s_endpgm
	.section	.rodata,"a",@progbits
	.p2align	6, 0x0
	.amdhsa_kernel _Z9vhgw_vertIL11MorphOpType1EEvPhPKhiii
		.amdhsa_group_segment_fixed_size 0
		.amdhsa_private_segment_fixed_size 0
		.amdhsa_kernarg_size 288
		.amdhsa_user_sgpr_count 6
		.amdhsa_user_sgpr_private_segment_buffer 1
		.amdhsa_user_sgpr_dispatch_ptr 0
		.amdhsa_user_sgpr_queue_ptr 0
		.amdhsa_user_sgpr_kernarg_segment_ptr 1
		.amdhsa_user_sgpr_dispatch_id 0
		.amdhsa_user_sgpr_flat_scratch_init 0
		.amdhsa_user_sgpr_private_segment_size 0
		.amdhsa_uses_dynamic_stack 0
		.amdhsa_system_sgpr_private_segment_wavefront_offset 0
		.amdhsa_system_sgpr_workgroup_id_x 1
		.amdhsa_system_sgpr_workgroup_id_y 1
		.amdhsa_system_sgpr_workgroup_id_z 0
		.amdhsa_system_sgpr_workgroup_info 0
		.amdhsa_system_vgpr_workitem_id 1
		.amdhsa_next_free_vgpr 11
		.amdhsa_next_free_sgpr 12
		.amdhsa_reserve_vcc 1
		.amdhsa_reserve_flat_scratch 0
		.amdhsa_float_round_mode_32 0
		.amdhsa_float_round_mode_16_64 0
		.amdhsa_float_denorm_mode_32 3
		.amdhsa_float_denorm_mode_16_64 3
		.amdhsa_dx10_clamp 1
		.amdhsa_ieee_mode 1
		.amdhsa_fp16_overflow 0
		.amdhsa_exception_fp_ieee_invalid_op 0
		.amdhsa_exception_fp_denorm_src 0
		.amdhsa_exception_fp_ieee_div_zero 0
		.amdhsa_exception_fp_ieee_overflow 0
		.amdhsa_exception_fp_ieee_underflow 0
		.amdhsa_exception_fp_ieee_inexact 0
		.amdhsa_exception_int_div_zero 0
	.end_amdhsa_kernel
	.section	.text._Z9vhgw_vertIL11MorphOpType1EEvPhPKhiii,"axG",@progbits,_Z9vhgw_vertIL11MorphOpType1EEvPhPKhiii,comdat
.Lfunc_end3:
	.size	_Z9vhgw_vertIL11MorphOpType1EEvPhPKhiii, .Lfunc_end3-_Z9vhgw_vertIL11MorphOpType1EEvPhPKhiii
                                        ; -- End function
	.set _Z9vhgw_vertIL11MorphOpType1EEvPhPKhiii.num_vgpr, 11
	.set _Z9vhgw_vertIL11MorphOpType1EEvPhPKhiii.num_agpr, 0
	.set _Z9vhgw_vertIL11MorphOpType1EEvPhPKhiii.numbered_sgpr, 12
	.set _Z9vhgw_vertIL11MorphOpType1EEvPhPKhiii.num_named_barrier, 0
	.set _Z9vhgw_vertIL11MorphOpType1EEvPhPKhiii.private_seg_size, 0
	.set _Z9vhgw_vertIL11MorphOpType1EEvPhPKhiii.uses_vcc, 1
	.set _Z9vhgw_vertIL11MorphOpType1EEvPhPKhiii.uses_flat_scratch, 0
	.set _Z9vhgw_vertIL11MorphOpType1EEvPhPKhiii.has_dyn_sized_stack, 0
	.set _Z9vhgw_vertIL11MorphOpType1EEvPhPKhiii.has_recursion, 0
	.set _Z9vhgw_vertIL11MorphOpType1EEvPhPKhiii.has_indirect_call, 0
	.section	.AMDGPU.csdata,"",@progbits
; Kernel info:
; codeLenInByte = 596
; TotalNumSgprs: 16
; NumVgprs: 11
; ScratchSize: 0
; MemoryBound: 0
; FloatMode: 240
; IeeeMode: 1
; LDSByteSize: 0 bytes/workgroup (compile time only)
; SGPRBlocks: 1
; VGPRBlocks: 2
; NumSGPRsForWavesPerEU: 16
; NumVGPRsForWavesPerEU: 11
; Occupancy: 10
; WaveLimiterHint : 0
; COMPUTE_PGM_RSRC2:SCRATCH_EN: 0
; COMPUTE_PGM_RSRC2:USER_SGPR: 6
; COMPUTE_PGM_RSRC2:TRAP_HANDLER: 0
; COMPUTE_PGM_RSRC2:TGID_X_EN: 1
; COMPUTE_PGM_RSRC2:TGID_Y_EN: 1
; COMPUTE_PGM_RSRC2:TGID_Z_EN: 0
; COMPUTE_PGM_RSRC2:TIDIG_COMP_CNT: 1
	.section	.AMDGPU.gpr_maximums,"",@progbits
	.set amdgpu.max_num_vgpr, 0
	.set amdgpu.max_num_agpr, 0
	.set amdgpu.max_num_sgpr, 0
	.section	.AMDGPU.csdata,"",@progbits
	.type	__hip_cuid_9a95e63e69adaf8e,@object ; @__hip_cuid_9a95e63e69adaf8e
	.section	.bss,"aw",@nobits
	.globl	__hip_cuid_9a95e63e69adaf8e
__hip_cuid_9a95e63e69adaf8e:
	.byte	0                               ; 0x0
	.size	__hip_cuid_9a95e63e69adaf8e, 1

	.ident	"AMD clang version 22.0.0git (https://github.com/RadeonOpenCompute/llvm-project roc-7.2.4 26084 f58b06dce1f9c15707c5f808fd002e18c2accf7e)"
	.section	".note.GNU-stack","",@progbits
	.addrsig
	.addrsig_sym __hip_cuid_9a95e63e69adaf8e
	.amdgpu_metadata
---
amdhsa.kernels:
  - .args:
      - .actual_access:  write_only
        .address_space:  global
        .offset:         0
        .size:           8
        .value_kind:     global_buffer
      - .actual_access:  read_only
        .address_space:  global
        .offset:         8
        .size:           8
        .value_kind:     global_buffer
      - .offset:         16
        .size:           4
        .value_kind:     by_value
      - .offset:         20
        .size:           4
        .value_kind:     by_value
      - .offset:         24
        .size:           4
        .value_kind:     by_value
      - .offset:         32
        .size:           4
        .value_kind:     hidden_block_count_x
      - .offset:         36
        .size:           4
        .value_kind:     hidden_block_count_y
      - .offset:         40
        .size:           4
        .value_kind:     hidden_block_count_z
      - .offset:         44
        .size:           2
        .value_kind:     hidden_group_size_x
      - .offset:         46
        .size:           2
        .value_kind:     hidden_group_size_y
      - .offset:         48
        .size:           2
        .value_kind:     hidden_group_size_z
      - .offset:         50
        .size:           2
        .value_kind:     hidden_remainder_x
      - .offset:         52
        .size:           2
        .value_kind:     hidden_remainder_y
      - .offset:         54
        .size:           2
        .value_kind:     hidden_remainder_z
      - .offset:         72
        .size:           8
        .value_kind:     hidden_global_offset_x
      - .offset:         80
        .size:           8
        .value_kind:     hidden_global_offset_y
      - .offset:         88
        .size:           8
        .value_kind:     hidden_global_offset_z
      - .offset:         96
        .size:           2
        .value_kind:     hidden_grid_dims
      - .offset:         152
        .size:           4
        .value_kind:     hidden_dynamic_lds_size
    .group_segment_fixed_size: 0
    .kernarg_segment_align: 8
    .kernarg_segment_size: 288
    .language:       OpenCL C
    .language_version:
      - 2
      - 0
    .max_flat_workgroup_size: 1024
    .name:           _Z10vhgw_horizIL11MorphOpType0EEvPhPKhiii
    .private_segment_fixed_size: 0
    .sgpr_count:     16
    .sgpr_spill_count: 0
    .symbol:         _Z10vhgw_horizIL11MorphOpType0EEvPhPKhiii.kd
    .uniform_work_group_size: 1
    .uses_dynamic_stack: false
    .vgpr_count:     9
    .vgpr_spill_count: 0
    .wavefront_size: 64
  - .args:
      - .actual_access:  write_only
        .address_space:  global
        .offset:         0
        .size:           8
        .value_kind:     global_buffer
      - .actual_access:  read_only
        .address_space:  global
        .offset:         8
        .size:           8
        .value_kind:     global_buffer
      - .offset:         16
        .size:           4
        .value_kind:     by_value
      - .offset:         20
        .size:           4
        .value_kind:     by_value
      - .offset:         24
        .size:           4
        .value_kind:     by_value
      - .offset:         32
        .size:           4
        .value_kind:     hidden_block_count_x
      - .offset:         36
        .size:           4
        .value_kind:     hidden_block_count_y
      - .offset:         40
        .size:           4
        .value_kind:     hidden_block_count_z
      - .offset:         44
        .size:           2
        .value_kind:     hidden_group_size_x
      - .offset:         46
        .size:           2
        .value_kind:     hidden_group_size_y
      - .offset:         48
        .size:           2
        .value_kind:     hidden_group_size_z
      - .offset:         50
        .size:           2
        .value_kind:     hidden_remainder_x
      - .offset:         52
        .size:           2
        .value_kind:     hidden_remainder_y
      - .offset:         54
        .size:           2
        .value_kind:     hidden_remainder_z
      - .offset:         72
        .size:           8
        .value_kind:     hidden_global_offset_x
      - .offset:         80
        .size:           8
        .value_kind:     hidden_global_offset_y
      - .offset:         88
        .size:           8
        .value_kind:     hidden_global_offset_z
      - .offset:         96
        .size:           2
        .value_kind:     hidden_grid_dims
      - .offset:         152
        .size:           4
        .value_kind:     hidden_dynamic_lds_size
    .group_segment_fixed_size: 0
    .kernarg_segment_align: 8
    .kernarg_segment_size: 288
    .language:       OpenCL C
    .language_version:
      - 2
      - 0
    .max_flat_workgroup_size: 1024
    .name:           _Z9vhgw_vertIL11MorphOpType0EEvPhPKhiii
    .private_segment_fixed_size: 0
    .sgpr_count:     16
    .sgpr_spill_count: 0
    .symbol:         _Z9vhgw_vertIL11MorphOpType0EEvPhPKhiii.kd
    .uniform_work_group_size: 1
    .uses_dynamic_stack: false
    .vgpr_count:     11
    .vgpr_spill_count: 0
    .wavefront_size: 64
  - .args:
      - .actual_access:  write_only
        .address_space:  global
        .offset:         0
        .size:           8
        .value_kind:     global_buffer
      - .actual_access:  read_only
        .address_space:  global
        .offset:         8
        .size:           8
        .value_kind:     global_buffer
      - .offset:         16
        .size:           4
        .value_kind:     by_value
      - .offset:         20
        .size:           4
        .value_kind:     by_value
      - .offset:         24
        .size:           4
        .value_kind:     by_value
      - .offset:         32
        .size:           4
        .value_kind:     hidden_block_count_x
      - .offset:         36
        .size:           4
        .value_kind:     hidden_block_count_y
      - .offset:         40
        .size:           4
        .value_kind:     hidden_block_count_z
      - .offset:         44
        .size:           2
        .value_kind:     hidden_group_size_x
      - .offset:         46
        .size:           2
        .value_kind:     hidden_group_size_y
      - .offset:         48
        .size:           2
        .value_kind:     hidden_group_size_z
      - .offset:         50
        .size:           2
        .value_kind:     hidden_remainder_x
      - .offset:         52
        .size:           2
        .value_kind:     hidden_remainder_y
      - .offset:         54
        .size:           2
        .value_kind:     hidden_remainder_z
      - .offset:         72
        .size:           8
        .value_kind:     hidden_global_offset_x
      - .offset:         80
        .size:           8
        .value_kind:     hidden_global_offset_y
      - .offset:         88
        .size:           8
        .value_kind:     hidden_global_offset_z
      - .offset:         96
        .size:           2
        .value_kind:     hidden_grid_dims
      - .offset:         152
        .size:           4
        .value_kind:     hidden_dynamic_lds_size
    .group_segment_fixed_size: 0
    .kernarg_segment_align: 8
    .kernarg_segment_size: 288
    .language:       OpenCL C
    .language_version:
      - 2
      - 0
    .max_flat_workgroup_size: 1024
    .name:           _Z10vhgw_horizIL11MorphOpType1EEvPhPKhiii
    .private_segment_fixed_size: 0
    .sgpr_count:     16
    .sgpr_spill_count: 0
    .symbol:         _Z10vhgw_horizIL11MorphOpType1EEvPhPKhiii.kd
    .uniform_work_group_size: 1
    .uses_dynamic_stack: false
    .vgpr_count:     9
    .vgpr_spill_count: 0
    .wavefront_size: 64
  - .args:
      - .actual_access:  write_only
        .address_space:  global
        .offset:         0
        .size:           8
        .value_kind:     global_buffer
      - .actual_access:  read_only
        .address_space:  global
        .offset:         8
        .size:           8
        .value_kind:     global_buffer
      - .offset:         16
        .size:           4
        .value_kind:     by_value
      - .offset:         20
        .size:           4
        .value_kind:     by_value
      - .offset:         24
        .size:           4
        .value_kind:     by_value
      - .offset:         32
        .size:           4
        .value_kind:     hidden_block_count_x
      - .offset:         36
        .size:           4
        .value_kind:     hidden_block_count_y
      - .offset:         40
        .size:           4
        .value_kind:     hidden_block_count_z
      - .offset:         44
        .size:           2
        .value_kind:     hidden_group_size_x
      - .offset:         46
        .size:           2
        .value_kind:     hidden_group_size_y
      - .offset:         48
        .size:           2
        .value_kind:     hidden_group_size_z
      - .offset:         50
        .size:           2
        .value_kind:     hidden_remainder_x
      - .offset:         52
        .size:           2
        .value_kind:     hidden_remainder_y
      - .offset:         54
        .size:           2
        .value_kind:     hidden_remainder_z
      - .offset:         72
        .size:           8
        .value_kind:     hidden_global_offset_x
      - .offset:         80
        .size:           8
        .value_kind:     hidden_global_offset_y
      - .offset:         88
        .size:           8
        .value_kind:     hidden_global_offset_z
      - .offset:         96
        .size:           2
        .value_kind:     hidden_grid_dims
      - .offset:         152
        .size:           4
        .value_kind:     hidden_dynamic_lds_size
    .group_segment_fixed_size: 0
    .kernarg_segment_align: 8
    .kernarg_segment_size: 288
    .language:       OpenCL C
    .language_version:
      - 2
      - 0
    .max_flat_workgroup_size: 1024
    .name:           _Z9vhgw_vertIL11MorphOpType1EEvPhPKhiii
    .private_segment_fixed_size: 0
    .sgpr_count:     16
    .sgpr_spill_count: 0
    .symbol:         _Z9vhgw_vertIL11MorphOpType1EEvPhPKhiii.kd
    .uniform_work_group_size: 1
    .uses_dynamic_stack: false
    .vgpr_count:     11
    .vgpr_spill_count: 0
    .wavefront_size: 64
amdhsa.target:   amdgcn-amd-amdhsa--gfx906
amdhsa.version:
  - 1
  - 2
...

	.end_amdgpu_metadata
